;; amdgpu-corpus repo=zjin-lcf/HeCBench kind=compiled arch=gfx906 opt=O3
	.amdgcn_target "amdgcn-amd-amdhsa--gfx906"
	.amdhsa_code_object_version 6
	.text
	.protected	_Z3mdhPKfS0_S0_S0_S0_S0_S0_S0_Pfffi ; -- Begin function _Z3mdhPKfS0_S0_S0_S0_S0_S0_S0_Pfffi
	.globl	_Z3mdhPKfS0_S0_S0_S0_S0_S0_S0_Pfffi
	.p2align	8
	.type	_Z3mdhPKfS0_S0_S0_S0_S0_S0_S0_Pfffi,@function
_Z3mdhPKfS0_S0_S0_S0_S0_S0_S0_Pfffi:    ; @_Z3mdhPKfS0_S0_S0_S0_S0_S0_S0_Pfffi
; %bb.0:
	s_load_dword s0, s[4:5], 0x64
	s_load_dwordx2 s[28:29], s[4:5], 0x40
	s_load_dwordx4 s[24:27], s[4:5], 0x48
	s_waitcnt lgkmcnt(0)
	s_and_b32 s7, s0, 0xffff
	s_mul_i32 s6, s6, s7
	v_add_u32_e32 v1, s6, v0
	v_ashrrev_i32_e32 v2, 31, v1
	v_lshlrev_b64 v[17:18], 4, v[1:2]
	s_cmp_lt_i32 s26, 1
	s_mov_b32 s6, 0
	s_cbranch_scc1 .LBB0_8
; %bb.1:
	s_load_dwordx8 s[8:15], s[4:5], 0x0
	s_load_dwordx8 s[16:23], s[4:5], 0x20
	v_mul_u32_u24_e32 v19, 20, v0
	s_mov_b32 s4, s24
	s_mov_b32 s5, s24
	s_waitcnt lgkmcnt(0)
	v_mov_b32_e32 v2, s15
	v_add_co_u32_e32 v1, vcc, s14, v17
	v_addc_co_u32_e32 v2, vcc, v2, v18, vcc
	v_mov_b32_e32 v6, s17
	v_add_co_u32_e32 v5, vcc, s16, v17
	v_addc_co_u32_e32 v6, vcc, v6, v18, vcc
	;; [unrolled: 3-line block ×3, first 2 shown]
	global_load_dwordx4 v[1:4], v[1:2], off
	s_xor_b32 s16, s25, 0x80000000
	global_load_dwordx4 v[5:8], v[5:6], off
	s_mov_b32 s14, s24
	global_load_dwordx4 v[13:16], v[9:10], off
	v_mov_b32_e32 v9, 0
	s_mov_b32 s15, s24
	s_mov_b32 s17, s16
	;; [unrolled: 1-line block ×4, first 2 shown]
	v_mov_b32_e32 v10, v9
	v_mov_b32_e32 v11, v9
	;; [unrolled: 1-line block ×3, first 2 shown]
	v_add_u32_e32 v21, 0, v19
	s_mov_b32 s24, 0xf800000
	v_mov_b32_e32 v22, 0x260
	s_mov_b32 s27, 0x3fb8aa3b
	s_mov_b32 s30, 0xc2ce8ed0
	;; [unrolled: 1-line block ×3, first 2 shown]
	v_mov_b32_e32 v23, 0x7f800000
	s_branch .LBB0_3
.LBB0_2:                                ;   in Loop: Header=BB0_3 Depth=1
	s_add_i32 s6, s7, s6
	s_cmp_ge_i32 s6, s26
	s_barrier
	s_cbranch_scc1 .LBB0_9
.LBB0_3:                                ; =>This Loop Header: Depth=1
                                        ;     Child Loop BB0_7 Depth 2
	v_add_u32_e32 v19, s6, v0
	v_cmp_gt_i32_e32 vcc, s26, v19
	s_and_saveexec_b64 s[0:1], vcc
	s_cbranch_execz .LBB0_5
; %bb.4:                                ;   in Loop: Header=BB0_3 Depth=1
	v_ashrrev_i32_e32 v20, 31, v19
	v_lshlrev_b64 v[19:20], 2, v[19:20]
	v_mov_b32_e32 v25, s9
	v_add_co_u32_e32 v24, vcc, s8, v19
	v_addc_co_u32_e32 v25, vcc, v25, v20, vcc
	global_load_dword v26, v[24:25], off
	v_add_co_u32_e32 v24, vcc, s10, v19
	v_mov_b32_e32 v25, s11
	v_addc_co_u32_e32 v25, vcc, v25, v20, vcc
	global_load_dword v24, v[24:25], off
	v_mov_b32_e32 v25, s13
	s_waitcnt vmcnt(0)
	ds_write2_b32 v21, v26, v24 offset1:1
	v_add_co_u32_e32 v24, vcc, s12, v19
	v_addc_co_u32_e32 v25, vcc, v25, v20, vcc
	global_load_dword v26, v[24:25], off
	v_add_co_u32_e32 v24, vcc, s20, v19
	v_mov_b32_e32 v25, s21
	v_addc_co_u32_e32 v25, vcc, v25, v20, vcc
	global_load_dword v24, v[24:25], off
	v_add_co_u32_e32 v19, vcc, s22, v19
	s_waitcnt vmcnt(0)
	ds_write2_b32 v21, v26, v24 offset0:2 offset1:3
	v_mov_b32_e32 v24, s23
	v_addc_co_u32_e32 v20, vcc, v24, v20, vcc
	global_load_dword v19, v[19:20], off
	s_waitcnt vmcnt(0)
	ds_write_b32 v21, v19 offset:16
.LBB0_5:                                ;   in Loop: Header=BB0_3 Depth=1
	s_or_b64 exec, exec, s[0:1]
	s_add_i32 s0, s7, s6
	s_sub_i32 s1, s26, s6
	s_cmp_gt_i32 s0, s26
	s_cselect_b32 s7, s1, s7
	s_cmp_lt_i32 s7, 1
	s_waitcnt vmcnt(0) lgkmcnt(0)
	s_barrier
	s_cbranch_scc1 .LBB0_2
; %bb.6:                                ;   in Loop: Header=BB0_3 Depth=1
	s_mov_b32 s33, 0
	s_mov_b32 s34, 0
.LBB0_7:                                ;   Parent Loop BB0_3 Depth=1
                                        ; =>  This Inner Loop Header: Depth=2
	v_mov_b32_e32 v29, s34
	ds_read2_b32 v[30:31], v29 offset1:1
	ds_read2_b32 v[19:20], v29 offset0:2 offset1:3
	s_add_i32 s33, s33, 1
	s_add_i32 s34, s34, 20
	s_cmp_ge_i32 s33, s7
	s_waitcnt lgkmcnt(1)
	v_sub_f32_e32 v24, v8, v31
	v_sub_f32_e32 v25, v4, v30
	v_mul_f32_e32 v24, v24, v24
	v_fmac_f32_e32 v24, v25, v25
	s_waitcnt lgkmcnt(0)
	v_sub_f32_e32 v25, v16, v19
	v_fmac_f32_e32 v24, v25, v25
	v_mul_f32_e32 v25, 0x4f800000, v24
	v_cmp_gt_f32_e32 vcc, s24, v24
	v_cndmask_b32_e32 v24, v24, v25, vcc
	v_sqrt_f32_e32 v25, v24
	v_add_u32_e32 v26, -1, v25
	v_fma_f32 v27, -v26, v25, v24
	v_cmp_ge_f32_e64 s[0:1], 0, v27
	v_add_u32_e32 v27, 1, v25
	v_fma_f32 v28, -v27, v25, v24
	v_cmp_lt_f32_e64 s[2:3], 0, v28
	v_cndmask_b32_e64 v25, v25, v26, s[0:1]
	v_cndmask_b32_e64 v25, v25, v27, s[2:3]
	v_mul_f32_e32 v26, 0x37800000, v25
	v_cndmask_b32_e32 v25, v25, v26, vcc
	v_cmp_class_f32_e32 vcc, v24, v22
	v_cndmask_b32_e32 v24, v25, v24, vcc
	v_div_scale_f32 v25, s[0:1], v24, v24, v20
	v_rcp_f32_e32 v26, v25
	v_fma_f32 v27, -v25, v26, 1.0
	v_fmac_f32_e32 v26, v27, v26
	v_div_scale_f32 v27, vcc, v20, v24, v20
	v_mul_f32_e32 v28, v27, v26
	v_fma_f32 v32, -v25, v28, v27
	v_fmac_f32_e32 v28, v32, v26
	v_fma_f32 v25, -v25, v28, v27
	v_div_fmas_f32 v26, v25, v26, v28
	v_sub_f32_e32 v25, v7, v31
	v_mul_f32_e32 v25, v25, v25
	v_sub_f32_e32 v27, v3, v30
	v_fmac_f32_e32 v25, v27, v27
	v_sub_f32_e32 v27, v15, v19
	v_fmac_f32_e32 v25, v27, v27
	v_cmp_gt_f32_e32 vcc, s24, v25
	v_mul_f32_e32 v27, 0x4f800000, v25
	v_cndmask_b32_e32 v25, v25, v27, vcc
	v_sqrt_f32_e32 v27, v25
	v_add_u32_e32 v28, -1, v27
	v_fma_f32 v32, -v28, v27, v25
	v_cmp_ge_f32_e64 s[0:1], 0, v32
	v_add_u32_e32 v32, 1, v27
	v_fma_f32 v33, -v32, v27, v25
	v_cmp_lt_f32_e64 s[2:3], 0, v33
	v_cndmask_b32_e64 v27, v27, v28, s[0:1]
	v_cndmask_b32_e64 v27, v27, v32, s[2:3]
	v_mul_f32_e32 v28, 0x37800000, v27
	v_cndmask_b32_e32 v27, v27, v28, vcc
	v_cmp_class_f32_e32 vcc, v25, v22
	v_cndmask_b32_e32 v25, v27, v25, vcc
	v_div_scale_f32 v27, s[0:1], v25, v25, v20
	v_rcp_f32_e32 v28, v27
	v_fma_f32 v32, -v27, v28, 1.0
	v_fmac_f32_e32 v28, v32, v28
	v_div_scale_f32 v32, vcc, v20, v25, v20
	v_mul_f32_e32 v33, v32, v28
	v_fma_f32 v34, -v27, v33, v32
	v_fmac_f32_e32 v33, v34, v28
	v_fma_f32 v27, -v27, v33, v32
	v_div_fmas_f32 v28, v27, v28, v33
	v_sub_f32_e32 v27, v6, v31
	v_mul_f32_e32 v27, v27, v27
	v_sub_f32_e32 v32, v2, v30
	v_fmac_f32_e32 v27, v32, v32
	v_sub_f32_e32 v32, v14, v19
	v_fmac_f32_e32 v27, v32, v32
	v_cmp_gt_f32_e32 vcc, s24, v27
	v_mul_f32_e32 v32, 0x4f800000, v27
	v_cndmask_b32_e32 v27, v27, v32, vcc
	v_sqrt_f32_e32 v32, v27
	v_sub_f32_e32 v31, v5, v31
	v_sub_f32_e32 v30, v1, v30
	v_mul_f32_e32 v31, v31, v31
	v_add_u32_e32 v33, -1, v32
	v_fma_f32 v34, -v33, v32, v27
	v_cmp_ge_f32_e64 s[0:1], 0, v34
	v_add_u32_e32 v34, 1, v32
	v_fma_f32 v35, -v34, v32, v27
	v_cmp_lt_f32_e64 s[2:3], 0, v35
	v_cndmask_b32_e64 v32, v32, v33, s[0:1]
	v_cndmask_b32_e64 v32, v32, v34, s[2:3]
	v_mul_f32_e32 v33, 0x37800000, v32
	v_cndmask_b32_e32 v32, v32, v33, vcc
	v_cmp_class_f32_e32 vcc, v27, v22
	v_cndmask_b32_e32 v27, v32, v27, vcc
	v_div_scale_f32 v32, s[0:1], v27, v27, v20
	v_fmac_f32_e32 v31, v30, v30
	v_sub_f32_e32 v19, v13, v19
	v_fmac_f32_e32 v31, v19, v19
	v_mul_f32_e32 v19, 0x4f800000, v31
	v_rcp_f32_e32 v33, v32
	v_fma_f32 v34, -v32, v33, 1.0
	v_fmac_f32_e32 v33, v34, v33
	v_div_scale_f32 v34, vcc, v20, v27, v20
	v_mul_f32_e32 v35, v34, v33
	v_fma_f32 v36, -v32, v35, v34
	v_fmac_f32_e32 v35, v36, v33
	v_fma_f32 v32, -v32, v35, v34
	v_div_fmas_f32 v32, v32, v33, v35
	v_cmp_gt_f32_e32 vcc, s24, v31
	v_cndmask_b32_e32 v19, v31, v19, vcc
	v_sqrt_f32_e32 v30, v19
	v_add_u32_e32 v31, -1, v30
	v_fma_f32 v33, -v31, v30, v19
	v_cmp_ge_f32_e64 s[0:1], 0, v33
	v_add_u32_e32 v33, 1, v30
	v_fma_f32 v34, -v33, v30, v19
	v_cmp_lt_f32_e64 s[2:3], 0, v34
	v_cndmask_b32_e64 v30, v30, v31, s[0:1]
	v_cndmask_b32_e64 v30, v30, v33, s[2:3]
	v_mul_f32_e32 v31, 0x37800000, v30
	v_cndmask_b32_e32 v30, v30, v31, vcc
	v_cmp_class_f32_e32 vcc, v19, v22
	v_cndmask_b32_e32 v30, v30, v19, vcc
	v_div_scale_f32 v19, s[0:1], v30, v30, v20
	v_rcp_f32_e32 v31, v19
	v_fma_f32 v33, -v19, v31, 1.0
	v_fmac_f32_e32 v31, v33, v31
	v_div_scale_f32 v33, vcc, v20, v30, v20
	v_mul_f32_e32 v34, v33, v31
	v_fma_f32 v35, -v19, v34, v33
	v_fmac_f32_e32 v34, v35, v31
	v_fma_f32 v19, -v19, v34, v33
	v_div_fmas_f32 v31, v19, v31, v34
	v_div_fixup_f32 v19, v26, v24, v20
	v_div_fixup_f32 v26, v28, v25, v20
	;; [unrolled: 1-line block ×3, first 2 shown]
	v_mul_f32_e32 v28, s5, v28
	v_mul_f32_e32 v26, s14, v26
	;; [unrolled: 1-line block ×3, first 2 shown]
	v_div_fixup_f32 v20, v31, v30, v20
	ds_read_b32 v31, v29 offset:16
	v_mul_f32_e32 v20, s4, v20
	s_waitcnt lgkmcnt(0)
	v_sub_f32_e32 v29, v30, v31
	v_mul_f32_e32 v29, s16, v29
	v_mul_f32_e32 v30, 0x3fb8aa3b, v29
	v_fma_f32 v32, v29, s27, -v30
	v_cmp_ngt_f32_e32 vcc, s30, v29
	v_cmp_nlt_f32_e64 s[0:1], s31, v29
	v_fmac_f32_e32 v32, 0x32a5705f, v29
	v_rndne_f32_e32 v29, v30
	v_sub_f32_e32 v30, v30, v29
	v_add_f32_e32 v30, v30, v32
	v_cvt_i32_f32_e32 v29, v29
	v_exp_f32_e32 v30, v30
	v_sub_f32_e32 v27, v27, v31
	v_mul_f32_e32 v27, s17, v27
	v_sub_f32_e32 v25, v25, v31
	v_ldexp_f32 v29, v30, v29
	v_cndmask_b32_e32 v29, 0, v29, vcc
	v_cndmask_b32_e64 v29, v23, v29, s[0:1]
	v_mul_f32_e32 v29, v20, v29
	v_fma_f32 v20, s25, v31, 1.0
	v_div_scale_f32 v30, s[0:1], v20, v20, v29
	v_cmp_nlt_f32_e64 s[0:1], s31, v27
	v_mul_f32_e32 v25, s18, v25
	v_sub_f32_e32 v24, v24, v31
	v_mul_f32_e32 v24, s19, v24
	v_mul_f32_e32 v31, 0x3fb8aa3b, v24
	v_rcp_f32_e32 v32, v30
	v_fma_f32 v33, -v30, v32, 1.0
	v_fmac_f32_e32 v32, v33, v32
	v_div_scale_f32 v33, vcc, v29, v20, v29
	v_mul_f32_e32 v34, v33, v32
	v_fma_f32 v35, -v30, v34, v33
	v_fmac_f32_e32 v34, v35, v32
	v_fma_f32 v30, -v30, v34, v33
	v_div_fmas_f32 v30, v30, v32, v34
	v_mul_f32_e32 v32, 0x3fb8aa3b, v27
	v_fma_f32 v33, v27, s27, -v32
	v_cmp_ngt_f32_e32 vcc, s30, v27
	v_fmac_f32_e32 v33, 0x32a5705f, v27
	v_rndne_f32_e32 v27, v32
	v_sub_f32_e32 v32, v32, v27
	v_add_f32_e32 v32, v32, v33
	v_cvt_i32_f32_e32 v27, v27
	v_exp_f32_e32 v32, v32
	v_ldexp_f32 v27, v32, v27
	v_cndmask_b32_e32 v27, 0, v27, vcc
	v_cndmask_b32_e64 v27, v23, v27, s[0:1]
	v_mul_f32_e32 v27, v28, v27
	v_div_scale_f32 v28, s[0:1], v20, v20, v27
	v_cmp_nlt_f32_e64 s[0:1], s31, v25
	v_div_fixup_f32 v29, v30, v20, v29
	v_add_f32_e32 v9, v9, v29
	v_rcp_f32_e32 v32, v28
	v_fma_f32 v33, -v28, v32, 1.0
	v_fmac_f32_e32 v32, v33, v32
	v_div_scale_f32 v33, vcc, v27, v20, v27
	v_mul_f32_e32 v34, v33, v32
	v_fma_f32 v35, -v28, v34, v33
	v_fmac_f32_e32 v34, v35, v32
	v_fma_f32 v28, -v28, v34, v33
	v_div_fmas_f32 v28, v28, v32, v34
	v_mul_f32_e32 v32, 0x3fb8aa3b, v25
	v_fma_f32 v33, v25, s27, -v32
	v_cmp_ngt_f32_e32 vcc, s30, v25
	v_fmac_f32_e32 v33, 0x32a5705f, v25
	v_rndne_f32_e32 v25, v32
	v_sub_f32_e32 v32, v32, v25
	v_add_f32_e32 v32, v32, v33
	v_cvt_i32_f32_e32 v25, v25
	v_exp_f32_e32 v32, v32
	v_ldexp_f32 v25, v32, v25
	v_cndmask_b32_e32 v25, 0, v25, vcc
	v_cndmask_b32_e64 v25, v23, v25, s[0:1]
	v_mul_f32_e32 v25, v26, v25
	v_div_scale_f32 v26, s[0:1], v20, v20, v25
	v_cmp_ngt_f32_e64 s[0:1], s30, v24
	v_div_fixup_f32 v27, v28, v20, v27
	v_add_f32_e32 v10, v10, v27
	v_rcp_f32_e32 v32, v26
	v_fma_f32 v33, -v26, v32, 1.0
	v_fmac_f32_e32 v32, v33, v32
	v_div_scale_f32 v33, vcc, v25, v20, v25
	v_mul_f32_e32 v34, v33, v32
	v_fma_f32 v35, -v26, v34, v33
	v_fmac_f32_e32 v34, v35, v32
	v_fma_f32 v26, -v26, v34, v33
	v_div_fmas_f32 v26, v26, v32, v34
	v_fma_f32 v32, v24, s27, -v31
	v_cmp_nlt_f32_e32 vcc, s31, v24
	v_fmac_f32_e32 v32, 0x32a5705f, v24
	v_rndne_f32_e32 v24, v31
	v_sub_f32_e32 v31, v31, v24
	v_add_f32_e32 v31, v31, v32
	v_cvt_i32_f32_e32 v24, v24
	v_exp_f32_e32 v31, v31
	v_ldexp_f32 v24, v31, v24
	v_cndmask_b32_e64 v24, 0, v24, s[0:1]
	v_cndmask_b32_e32 v24, v23, v24, vcc
	v_mul_f32_e32 v19, v19, v24
	v_div_scale_f32 v24, s[0:1], v20, v20, v19
	v_div_fixup_f32 v25, v26, v20, v25
	v_add_f32_e32 v11, v11, v25
	v_rcp_f32_e32 v31, v24
	v_fma_f32 v32, -v24, v31, 1.0
	v_fmac_f32_e32 v31, v32, v31
	v_div_scale_f32 v32, vcc, v19, v20, v19
	v_mul_f32_e32 v33, v32, v31
	v_fma_f32 v34, -v24, v33, v32
	v_fmac_f32_e32 v33, v34, v31
	v_fma_f32 v24, -v24, v33, v32
	v_div_fmas_f32 v24, v24, v31, v33
	v_div_fixup_f32 v19, v24, v20, v19
	v_add_f32_e32 v12, v12, v19
	s_cbranch_scc0 .LBB0_7
	s_branch .LBB0_2
.LBB0_8:
	v_mov_b32_e32 v9, 0
	v_mov_b32_e32 v10, v9
	;; [unrolled: 1-line block ×4, first 2 shown]
.LBB0_9:
	v_mov_b32_e32 v1, s29
	v_add_co_u32_e32 v0, vcc, s28, v17
	v_addc_co_u32_e32 v1, vcc, v1, v18, vcc
	global_store_dwordx4 v[0:1], v[9:12], off
	s_endpgm
	.section	.rodata,"a",@progbits
	.p2align	6, 0x0
	.amdhsa_kernel _Z3mdhPKfS0_S0_S0_S0_S0_S0_S0_Pfffi
		.amdhsa_group_segment_fixed_size 0
		.amdhsa_private_segment_fixed_size 0
		.amdhsa_kernarg_size 344
		.amdhsa_user_sgpr_count 6
		.amdhsa_user_sgpr_private_segment_buffer 1
		.amdhsa_user_sgpr_dispatch_ptr 0
		.amdhsa_user_sgpr_queue_ptr 0
		.amdhsa_user_sgpr_kernarg_segment_ptr 1
		.amdhsa_user_sgpr_dispatch_id 0
		.amdhsa_user_sgpr_flat_scratch_init 0
		.amdhsa_user_sgpr_private_segment_size 0
		.amdhsa_uses_dynamic_stack 0
		.amdhsa_system_sgpr_private_segment_wavefront_offset 0
		.amdhsa_system_sgpr_workgroup_id_x 1
		.amdhsa_system_sgpr_workgroup_id_y 0
		.amdhsa_system_sgpr_workgroup_id_z 0
		.amdhsa_system_sgpr_workgroup_info 0
		.amdhsa_system_vgpr_workitem_id 0
		.amdhsa_next_free_vgpr 37
		.amdhsa_next_free_sgpr 35
		.amdhsa_reserve_vcc 1
		.amdhsa_reserve_flat_scratch 0
		.amdhsa_float_round_mode_32 0
		.amdhsa_float_round_mode_16_64 0
		.amdhsa_float_denorm_mode_32 3
		.amdhsa_float_denorm_mode_16_64 3
		.amdhsa_dx10_clamp 1
		.amdhsa_ieee_mode 1
		.amdhsa_fp16_overflow 0
		.amdhsa_exception_fp_ieee_invalid_op 0
		.amdhsa_exception_fp_denorm_src 0
		.amdhsa_exception_fp_ieee_div_zero 0
		.amdhsa_exception_fp_ieee_overflow 0
		.amdhsa_exception_fp_ieee_underflow 0
		.amdhsa_exception_fp_ieee_inexact 0
		.amdhsa_exception_int_div_zero 0
	.end_amdhsa_kernel
	.text
.Lfunc_end0:
	.size	_Z3mdhPKfS0_S0_S0_S0_S0_S0_S0_Pfffi, .Lfunc_end0-_Z3mdhPKfS0_S0_S0_S0_S0_S0_S0_Pfffi
                                        ; -- End function
	.set _Z3mdhPKfS0_S0_S0_S0_S0_S0_S0_Pfffi.num_vgpr, 37
	.set _Z3mdhPKfS0_S0_S0_S0_S0_S0_S0_Pfffi.num_agpr, 0
	.set _Z3mdhPKfS0_S0_S0_S0_S0_S0_S0_Pfffi.numbered_sgpr, 35
	.set _Z3mdhPKfS0_S0_S0_S0_S0_S0_S0_Pfffi.num_named_barrier, 0
	.set _Z3mdhPKfS0_S0_S0_S0_S0_S0_S0_Pfffi.private_seg_size, 0
	.set _Z3mdhPKfS0_S0_S0_S0_S0_S0_S0_Pfffi.uses_vcc, 1
	.set _Z3mdhPKfS0_S0_S0_S0_S0_S0_S0_Pfffi.uses_flat_scratch, 0
	.set _Z3mdhPKfS0_S0_S0_S0_S0_S0_S0_Pfffi.has_dyn_sized_stack, 0
	.set _Z3mdhPKfS0_S0_S0_S0_S0_S0_S0_Pfffi.has_recursion, 0
	.set _Z3mdhPKfS0_S0_S0_S0_S0_S0_S0_Pfffi.has_indirect_call, 0
	.section	.AMDGPU.csdata,"",@progbits
; Kernel info:
; codeLenInByte = 2032
; TotalNumSgprs: 39
; NumVgprs: 37
; ScratchSize: 0
; MemoryBound: 0
; FloatMode: 240
; IeeeMode: 1
; LDSByteSize: 0 bytes/workgroup (compile time only)
; SGPRBlocks: 4
; VGPRBlocks: 9
; NumSGPRsForWavesPerEU: 39
; NumVGPRsForWavesPerEU: 37
; Occupancy: 6
; WaveLimiterHint : 0
; COMPUTE_PGM_RSRC2:SCRATCH_EN: 0
; COMPUTE_PGM_RSRC2:USER_SGPR: 6
; COMPUTE_PGM_RSRC2:TRAP_HANDLER: 0
; COMPUTE_PGM_RSRC2:TGID_X_EN: 1
; COMPUTE_PGM_RSRC2:TGID_Y_EN: 0
; COMPUTE_PGM_RSRC2:TGID_Z_EN: 0
; COMPUTE_PGM_RSRC2:TIDIG_COMP_CNT: 0
	.text
	.protected	_Z4mdh2PKfS0_S0_S0_S0_S0_S0_S0_Pfffi ; -- Begin function _Z4mdh2PKfS0_S0_S0_S0_S0_S0_S0_Pfffi
	.globl	_Z4mdh2PKfS0_S0_S0_S0_S0_S0_S0_Pfffi
	.p2align	8
	.type	_Z4mdh2PKfS0_S0_S0_S0_S0_S0_S0_Pfffi,@function
_Z4mdh2PKfS0_S0_S0_S0_S0_S0_S0_Pfffi:   ; @_Z4mdh2PKfS0_S0_S0_S0_S0_S0_S0_Pfffi
; %bb.0:
	s_load_dword s0, s[4:5], 0x64
	s_load_dwordx2 s[2:3], s[4:5], 0x40
	s_load_dwordx4 s[24:27], s[4:5], 0x48
	s_waitcnt lgkmcnt(0)
	s_and_b32 s7, s0, 0xffff
	s_mul_i32 s6, s6, s7
	v_add_u32_e32 v1, s6, v0
	v_ashrrev_i32_e32 v2, 31, v1
	v_lshlrev_b64 v[17:18], 4, v[1:2]
	s_cmp_lt_i32 s26, 1
	s_cbranch_scc1 .LBB1_8
; %bb.1:
	s_load_dwordx8 s[8:15], s[4:5], 0x0
	s_load_dwordx8 s[16:23], s[4:5], 0x20
	s_mov_b32 s4, s24
	s_mov_b32 s5, s24
	;; [unrolled: 1-line block ×3, first 2 shown]
	s_waitcnt lgkmcnt(0)
	v_mov_b32_e32 v2, s15
	v_add_co_u32_e32 v1, vcc, s14, v17
	v_addc_co_u32_e32 v2, vcc, v2, v18, vcc
	v_mov_b32_e32 v6, s17
	v_add_co_u32_e32 v5, vcc, s16, v17
	v_addc_co_u32_e32 v6, vcc, v6, v18, vcc
	global_load_dwordx4 v[9:12], v[5:6], off
	v_mov_b32_e32 v6, s19
	v_add_co_u32_e32 v5, vcc, s18, v17
	v_addc_co_u32_e32 v6, vcc, v6, v18, vcc
	global_load_dwordx4 v[1:4], v[1:2], off
	s_xor_b32 s15, s25, 0x80000000
	global_load_dwordx4 v[13:16], v[5:6], off
	v_mov_b32_e32 v5, 0
	s_mov_b32 s14, s24
	s_mov_b32 s16, s15
	;; [unrolled: 1-line block ×5, first 2 shown]
	v_mov_b32_e32 v6, v5
	v_mov_b32_e32 v7, v5
	;; [unrolled: 1-line block ×3, first 2 shown]
	s_mov_b32 s24, 0xf800000
	v_mov_b32_e32 v22, 0x260
	s_mov_b32 s27, 0x3fb8aa3b
	s_mov_b32 s28, 0xc2ce8ed0
	;; [unrolled: 1-line block ×3, first 2 shown]
	v_mov_b32_e32 v23, 0x7f800000
	v_lshl_add_u32 v19, v0, 2, 0
	s_branch .LBB1_3
.LBB1_2:                                ;   in Loop: Header=BB1_3 Depth=1
	s_add_i32 s19, s7, s19
	s_cmp_ge_i32 s19, s26
	s_barrier
	s_cbranch_scc1 .LBB1_9
.LBB1_3:                                ; =>This Loop Header: Depth=1
                                        ;     Child Loop BB1_7 Depth 2
	s_add_i32 s34, s7, s19
	s_sub_i32 s0, s26, s19
	s_cmp_gt_i32 s34, s26
	v_add_u32_e32 v20, s19, v0
	s_cselect_b32 s7, s0, s7
	v_cmp_gt_i32_e32 vcc, s26, v20
	s_and_saveexec_b64 s[0:1], vcc
	s_cbranch_execz .LBB1_5
; %bb.4:                                ;   in Loop: Header=BB1_3 Depth=1
	v_ashrrev_i32_e32 v21, 31, v20
	v_lshlrev_b64 v[20:21], 2, v[20:21]
	v_mov_b32_e32 v25, s9
	v_add_co_u32_e32 v24, vcc, s8, v20
	v_addc_co_u32_e32 v25, vcc, v25, v21, vcc
	global_load_dword v24, v[24:25], off
	v_mov_b32_e32 v25, s11
	s_waitcnt vmcnt(0)
	ds_write_b32 v19, v24
	v_add_co_u32_e32 v24, vcc, s10, v20
	v_addc_co_u32_e32 v25, vcc, v25, v21, vcc
	global_load_dword v24, v[24:25], off
	v_lshl_add_u32 v25, s7, 2, v19
	s_waitcnt vmcnt(0)
	ds_write_b32 v25, v24
	v_add_co_u32_e32 v24, vcc, s12, v20
	v_mov_b32_e32 v25, s13
	v_addc_co_u32_e32 v25, vcc, v25, v21, vcc
	global_load_dword v24, v[24:25], off
	v_lshl_add_u32 v25, s7, 3, v19
	s_waitcnt vmcnt(0)
	ds_write_b32 v25, v24
	v_add_co_u32_e32 v24, vcc, s20, v20
	v_mov_b32_e32 v25, s21
	v_addc_co_u32_e32 v25, vcc, v25, v21, vcc
	global_load_dword v26, v[24:25], off
	v_mad_u64_u32 v[24:25], s[30:31], s7, 12, v[19:20]
	v_add_co_u32_e32 v20, vcc, s22, v20
	s_waitcnt vmcnt(0)
	ds_write_b32 v24, v26
	v_mov_b32_e32 v24, s23
	v_addc_co_u32_e32 v21, vcc, v24, v21, vcc
	global_load_dword v20, v[20:21], off
	v_lshl_add_u32 v21, s7, 4, v19
	s_waitcnt vmcnt(0)
	ds_write_b32 v21, v20
.LBB1_5:                                ;   in Loop: Header=BB1_3 Depth=1
	s_or_b64 exec, exec, s[0:1]
	s_cmp_lt_i32 s7, 1
	s_waitcnt vmcnt(0) lgkmcnt(0)
	s_barrier
	s_cbranch_scc1 .LBB1_2
; %bb.6:                                ;   in Loop: Header=BB1_3 Depth=1
	s_min_i32 s0, s26, s34
	s_lshl_b32 s0, s0, 2
	s_lshl_b32 s1, s19, 2
	;; [unrolled: 1-line block ×3, first 2 shown]
	s_mul_i32 s31, s7, 12
	s_lshl_b32 s33, s7, 4
	s_sub_i32 s34, s0, s1
	s_mov_b32 s35, 0
	s_mov_b32 s36, 0
.LBB1_7:                                ;   Parent Loop BB1_3 Depth=1
                                        ; =>  This Inner Loop Header: Depth=2
	s_add_i32 s0, s36, s34
	v_mov_b32_e32 v20, s36
	v_mov_b32_e32 v26, s0
	ds_read_b32 v20, v20
	ds_read_b32 v26, v26
	s_add_i32 s0, s36, s30
	v_mov_b32_e32 v30, s0
	ds_read_b32 v30, v30
	s_waitcnt lgkmcnt(2)
	v_sub_f32_e32 v21, v4, v20
	s_waitcnt lgkmcnt(1)
	v_sub_f32_e32 v27, v9, v26
	v_sub_f32_e32 v24, v3, v20
	;; [unrolled: 1-line block ×4, first 2 shown]
	v_mul_f32_e32 v27, v27, v27
	s_waitcnt lgkmcnt(0)
	v_sub_f32_e32 v31, v13, v30
	v_fmac_f32_e32 v27, v20, v20
	v_fmac_f32_e32 v27, v31, v31
	v_sub_f32_e32 v28, v10, v26
	v_sub_f32_e32 v29, v11, v26
	;; [unrolled: 1-line block ×3, first 2 shown]
	v_cmp_gt_f32_e32 vcc, s24, v27
	v_mul_f32_e32 v20, 0x4f800000, v27
	v_mul_f32_e32 v26, v26, v26
	v_cndmask_b32_e32 v20, v27, v20, vcc
	v_fmac_f32_e32 v26, v21, v21
	v_sqrt_f32_e32 v21, v20
	v_mul_f32_e32 v29, v29, v29
	v_mul_f32_e32 v28, v28, v28
	v_fmac_f32_e32 v29, v24, v24
	v_add_u32_e32 v24, -1, v21
	v_fmac_f32_e32 v28, v25, v25
	v_fma_f32 v25, -v24, v21, v20
	v_cmp_ge_f32_e64 s[0:1], 0, v25
	v_add_u32_e32 v25, 1, v21
	v_cndmask_b32_e64 v24, v21, v24, s[0:1]
	v_fma_f32 v21, -v25, v21, v20
	v_cmp_lt_f32_e64 s[0:1], 0, v21
	v_cndmask_b32_e64 v21, v24, v25, s[0:1]
	v_sub_f32_e32 v32, v14, v30
	v_mul_f32_e32 v24, 0x37800000, v21
	v_fmac_f32_e32 v28, v32, v32
	v_cndmask_b32_e32 v21, v21, v24, vcc
	v_cmp_class_f32_e32 vcc, v20, v22
	v_cndmask_b32_e32 v20, v21, v20, vcc
	v_cmp_gt_f32_e32 vcc, s24, v28
	v_mul_f32_e32 v21, 0x4f800000, v28
	v_cndmask_b32_e32 v21, v28, v21, vcc
	v_sqrt_f32_e32 v24, v21
	v_sub_f32_e32 v33, v15, v30
	v_fmac_f32_e32 v29, v33, v33
	v_sub_f32_e32 v30, v16, v30
	v_add_u32_e32 v25, -1, v24
	v_fma_f32 v27, -v25, v24, v21
	v_cmp_ge_f32_e64 s[0:1], 0, v27
	v_add_u32_e32 v27, 1, v24
	v_cndmask_b32_e64 v25, v24, v25, s[0:1]
	v_fma_f32 v24, -v27, v24, v21
	v_cmp_lt_f32_e64 s[0:1], 0, v24
	v_cndmask_b32_e64 v24, v25, v27, s[0:1]
	v_mul_f32_e32 v25, 0x37800000, v24
	v_cndmask_b32_e32 v24, v24, v25, vcc
	v_cmp_class_f32_e32 vcc, v21, v22
	v_cndmask_b32_e32 v21, v24, v21, vcc
	v_cmp_gt_f32_e32 vcc, s24, v29
	v_mul_f32_e32 v24, 0x4f800000, v29
	v_cndmask_b32_e32 v24, v29, v24, vcc
	v_sqrt_f32_e32 v25, v24
	v_fmac_f32_e32 v26, v30, v30
	s_add_i32 s35, s35, 1
	v_add_u32_e32 v27, -1, v25
	v_fma_f32 v28, -v27, v25, v24
	v_cmp_ge_f32_e64 s[0:1], 0, v28
	v_add_u32_e32 v28, 1, v25
	v_cndmask_b32_e64 v27, v25, v27, s[0:1]
	v_fma_f32 v25, -v28, v25, v24
	v_cmp_lt_f32_e64 s[0:1], 0, v25
	v_cndmask_b32_e64 v25, v27, v28, s[0:1]
	v_mul_f32_e32 v27, 0x37800000, v25
	v_cndmask_b32_e32 v25, v25, v27, vcc
	v_cmp_class_f32_e32 vcc, v24, v22
	v_cndmask_b32_e32 v24, v25, v24, vcc
	v_cmp_gt_f32_e32 vcc, s24, v26
	v_mul_f32_e32 v25, 0x4f800000, v26
	v_cndmask_b32_e32 v25, v26, v25, vcc
	v_sqrt_f32_e32 v26, v25
	v_add_u32_e32 v27, -1, v26
	v_fma_f32 v28, -v27, v26, v25
	v_cmp_ge_f32_e64 s[0:1], 0, v28
	v_add_u32_e32 v28, 1, v26
	v_cndmask_b32_e64 v27, v26, v27, s[0:1]
	v_fma_f32 v26, -v28, v26, v25
	v_cmp_lt_f32_e64 s[0:1], 0, v26
	v_cndmask_b32_e64 v26, v27, v28, s[0:1]
	v_mul_f32_e32 v27, 0x37800000, v26
	v_cndmask_b32_e32 v26, v26, v27, vcc
	v_cmp_class_f32_e32 vcc, v25, v22
	s_add_i32 s0, s36, s31
	v_cndmask_b32_e32 v25, v26, v25, vcc
	v_mov_b32_e32 v26, s0
	ds_read_b32 v26, v26
	s_waitcnt lgkmcnt(0)
	v_div_scale_f32 v27, s[0:1], v25, v25, v26
	v_rcp_f32_e32 v28, v27
	v_fma_f32 v29, -v27, v28, 1.0
	v_fmac_f32_e32 v28, v29, v28
	v_div_scale_f32 v29, vcc, v26, v25, v26
	v_mul_f32_e32 v30, v29, v28
	v_fma_f32 v31, -v27, v30, v29
	v_fmac_f32_e32 v30, v31, v28
	v_fma_f32 v27, -v27, v30, v29
	v_div_fmas_f32 v27, v27, v28, v30
	v_div_fixup_f32 v29, v27, v25, v26
	v_div_scale_f32 v27, s[0:1], v24, v24, v26
	v_mul_f32_e32 v29, s14, v29
	v_rcp_f32_e32 v28, v27
	v_fma_f32 v30, -v27, v28, 1.0
	v_fmac_f32_e32 v28, v30, v28
	v_div_scale_f32 v30, vcc, v26, v24, v26
	v_mul_f32_e32 v31, v30, v28
	v_fma_f32 v32, -v27, v31, v30
	v_fmac_f32_e32 v31, v32, v28
	v_fma_f32 v27, -v27, v31, v30
	v_div_fmas_f32 v27, v27, v28, v31
	v_div_fixup_f32 v28, v27, v24, v26
	v_div_scale_f32 v27, s[0:1], v21, v21, v26
	v_mul_f32_e32 v28, s6, v28
	v_rcp_f32_e32 v30, v27
	v_fma_f32 v31, -v27, v30, 1.0
	v_fmac_f32_e32 v30, v31, v30
	v_div_scale_f32 v31, vcc, v26, v21, v26
	v_mul_f32_e32 v32, v31, v30
	v_fma_f32 v33, -v27, v32, v31
	v_fmac_f32_e32 v32, v33, v30
	v_fma_f32 v27, -v27, v32, v31
	v_div_fmas_f32 v27, v27, v30, v32
	v_div_scale_f32 v30, s[0:1], v20, v20, v26
	s_add_i32 s0, s36, s33
	s_add_i32 s36, s36, 4
	s_cmp_ge_i32 s35, s7
	v_div_fixup_f32 v27, v27, v21, v26
	v_rcp_f32_e32 v31, v30
	v_mul_f32_e32 v27, s5, v27
	v_fma_f32 v32, -v30, v31, 1.0
	v_fmac_f32_e32 v31, v32, v31
	v_div_scale_f32 v32, vcc, v26, v20, v26
	v_mul_f32_e32 v33, v32, v31
	v_fma_f32 v34, -v30, v33, v32
	v_fmac_f32_e32 v33, v34, v31
	v_fma_f32 v30, -v30, v33, v32
	v_div_fmas_f32 v30, v30, v31, v33
	v_div_fixup_f32 v26, v30, v20, v26
	v_mov_b32_e32 v30, s0
	ds_read_b32 v30, v30
	v_mul_f32_e32 v26, s4, v26
	s_waitcnt lgkmcnt(0)
	v_sub_f32_e32 v31, v20, v30
	v_sub_f32_e32 v20, v25, v30
	v_mul_f32_e32 v25, s15, v31
	v_mul_f32_e32 v31, 0x3fb8aa3b, v25
	v_fma_f32 v32, v25, s27, -v31
	v_rndne_f32_e32 v33, v31
	v_fmac_f32_e32 v32, 0x32a5705f, v25
	v_sub_f32_e32 v31, v31, v33
	v_add_f32_e32 v31, v31, v32
	v_exp_f32_e32 v31, v31
	v_cvt_i32_f32_e32 v32, v33
	v_sub_f32_e32 v21, v21, v30
	v_cmp_ngt_f32_e32 vcc, s28, v25
	v_mul_f32_e32 v21, s16, v21
	v_ldexp_f32 v31, v31, v32
	v_cndmask_b32_e32 v31, 0, v31, vcc
	v_cmp_nlt_f32_e32 vcc, s29, v25
	v_cndmask_b32_e32 v25, v23, v31, vcc
	v_mul_f32_e32 v31, 0x3fb8aa3b, v21
	v_fma_f32 v32, v21, s27, -v31
	v_rndne_f32_e32 v33, v31
	v_fmac_f32_e32 v32, 0x32a5705f, v21
	v_sub_f32_e32 v31, v31, v33
	v_add_f32_e32 v31, v31, v32
	v_exp_f32_e32 v31, v31
	v_cvt_i32_f32_e32 v32, v33
	v_sub_f32_e32 v24, v24, v30
	v_cmp_ngt_f32_e32 vcc, s28, v21
	v_mul_f32_e32 v24, s17, v24
	v_ldexp_f32 v31, v31, v32
	v_cndmask_b32_e32 v31, 0, v31, vcc
	v_cmp_nlt_f32_e32 vcc, s29, v21
	v_cndmask_b32_e32 v21, v23, v31, vcc
	v_mul_f32_e32 v31, 0x3fb8aa3b, v24
	v_fma_f32 v32, v24, s27, -v31
	v_rndne_f32_e32 v33, v31
	v_fmac_f32_e32 v32, 0x32a5705f, v24
	v_sub_f32_e32 v31, v31, v33
	v_add_f32_e32 v31, v31, v32
	v_exp_f32_e32 v31, v31
	v_cvt_i32_f32_e32 v32, v33
	v_cmp_ngt_f32_e32 vcc, s28, v24
	v_mul_f32_e32 v27, v27, v21
	v_fma_f32 v21, s25, v30, 1.0
	v_ldexp_f32 v31, v31, v32
	v_cndmask_b32_e32 v31, 0, v31, vcc
	v_cmp_nlt_f32_e32 vcc, s29, v24
	v_cndmask_b32_e32 v24, v23, v31, vcc
	v_mul_f32_e32 v28, v28, v24
	v_mul_f32_e32 v24, v26, v25
	v_div_scale_f32 v25, s[0:1], v21, v21, v24
	v_mul_f32_e32 v20, s18, v20
	v_mul_f32_e32 v31, 0x3fb8aa3b, v20
	v_fma_f32 v32, v20, s27, -v31
	v_rndne_f32_e32 v33, v31
	v_fmac_f32_e32 v32, 0x32a5705f, v20
	v_sub_f32_e32 v31, v31, v33
	v_add_f32_e32 v31, v31, v32
	v_exp_f32_e32 v31, v31
	v_cvt_i32_f32_e32 v32, v33
	v_cmp_ngt_f32_e32 vcc, s28, v20
	v_ldexp_f32 v31, v31, v32
	v_cndmask_b32_e32 v31, 0, v31, vcc
	v_rcp_f32_e32 v26, v25
	v_cmp_nlt_f32_e32 vcc, s29, v20
	v_cndmask_b32_e32 v20, v23, v31, vcc
	v_mul_f32_e32 v20, v29, v20
	v_fma_f32 v29, -v25, v26, 1.0
	v_fmac_f32_e32 v26, v29, v26
	v_div_scale_f32 v29, vcc, v24, v21, v24
	v_mul_f32_e32 v30, v29, v26
	v_fma_f32 v31, -v25, v30, v29
	v_fmac_f32_e32 v30, v31, v26
	v_fma_f32 v25, -v25, v30, v29
	v_div_fmas_f32 v25, v25, v26, v30
	v_div_fixup_f32 v24, v25, v21, v24
	v_div_scale_f32 v25, s[0:1], v21, v21, v27
	v_add_f32_e32 v5, v5, v24
	v_rcp_f32_e32 v26, v25
	v_fma_f32 v29, -v25, v26, 1.0
	v_fmac_f32_e32 v26, v29, v26
	v_div_scale_f32 v29, vcc, v27, v21, v27
	v_mul_f32_e32 v30, v29, v26
	v_fma_f32 v31, -v25, v30, v29
	v_fmac_f32_e32 v30, v31, v26
	v_fma_f32 v25, -v25, v30, v29
	v_div_fmas_f32 v25, v25, v26, v30
	v_div_scale_f32 v26, s[0:1], v21, v21, v28
	v_div_fixup_f32 v25, v25, v21, v27
	v_rcp_f32_e32 v27, v26
	v_add_f32_e32 v6, v6, v25
	v_fma_f32 v29, -v26, v27, 1.0
	v_fmac_f32_e32 v27, v29, v27
	v_div_scale_f32 v29, vcc, v28, v21, v28
	v_mul_f32_e32 v30, v29, v27
	v_fma_f32 v31, -v26, v30, v29
	v_fmac_f32_e32 v30, v31, v27
	v_fma_f32 v26, -v26, v30, v29
	v_div_fmas_f32 v26, v26, v27, v30
	v_div_scale_f32 v27, s[0:1], v21, v21, v20
	v_div_fixup_f32 v26, v26, v21, v28
	v_rcp_f32_e32 v28, v27
	v_add_f32_e32 v7, v7, v26
	v_fma_f32 v29, -v27, v28, 1.0
	v_fmac_f32_e32 v28, v29, v28
	v_div_scale_f32 v29, vcc, v20, v21, v20
	v_mul_f32_e32 v30, v29, v28
	v_fma_f32 v31, -v27, v30, v29
	v_fmac_f32_e32 v30, v31, v28
	v_fma_f32 v27, -v27, v30, v29
	v_div_fmas_f32 v27, v27, v28, v30
	v_div_fixup_f32 v20, v27, v21, v20
	v_add_f32_e32 v8, v8, v20
	s_cbranch_scc0 .LBB1_7
	s_branch .LBB1_2
.LBB1_8:
	v_mov_b32_e32 v5, 0
	v_mov_b32_e32 v6, v5
	;; [unrolled: 1-line block ×4, first 2 shown]
.LBB1_9:
	v_mov_b32_e32 v1, s3
	v_add_co_u32_e32 v0, vcc, s2, v17
	v_addc_co_u32_e32 v1, vcc, v1, v18, vcc
	global_store_dwordx4 v[0:1], v[5:8], off
	s_endpgm
	.section	.rodata,"a",@progbits
	.p2align	6, 0x0
	.amdhsa_kernel _Z4mdh2PKfS0_S0_S0_S0_S0_S0_S0_Pfffi
		.amdhsa_group_segment_fixed_size 0
		.amdhsa_private_segment_fixed_size 0
		.amdhsa_kernarg_size 344
		.amdhsa_user_sgpr_count 6
		.amdhsa_user_sgpr_private_segment_buffer 1
		.amdhsa_user_sgpr_dispatch_ptr 0
		.amdhsa_user_sgpr_queue_ptr 0
		.amdhsa_user_sgpr_kernarg_segment_ptr 1
		.amdhsa_user_sgpr_dispatch_id 0
		.amdhsa_user_sgpr_flat_scratch_init 0
		.amdhsa_user_sgpr_private_segment_size 0
		.amdhsa_uses_dynamic_stack 0
		.amdhsa_system_sgpr_private_segment_wavefront_offset 0
		.amdhsa_system_sgpr_workgroup_id_x 1
		.amdhsa_system_sgpr_workgroup_id_y 0
		.amdhsa_system_sgpr_workgroup_id_z 0
		.amdhsa_system_sgpr_workgroup_info 0
		.amdhsa_system_vgpr_workitem_id 0
		.amdhsa_next_free_vgpr 35
		.amdhsa_next_free_sgpr 37
		.amdhsa_reserve_vcc 1
		.amdhsa_reserve_flat_scratch 0
		.amdhsa_float_round_mode_32 0
		.amdhsa_float_round_mode_16_64 0
		.amdhsa_float_denorm_mode_32 3
		.amdhsa_float_denorm_mode_16_64 3
		.amdhsa_dx10_clamp 1
		.amdhsa_ieee_mode 1
		.amdhsa_fp16_overflow 0
		.amdhsa_exception_fp_ieee_invalid_op 0
		.amdhsa_exception_fp_denorm_src 0
		.amdhsa_exception_fp_ieee_div_zero 0
		.amdhsa_exception_fp_ieee_overflow 0
		.amdhsa_exception_fp_ieee_underflow 0
		.amdhsa_exception_fp_ieee_inexact 0
		.amdhsa_exception_int_div_zero 0
	.end_amdhsa_kernel
	.text
.Lfunc_end1:
	.size	_Z4mdh2PKfS0_S0_S0_S0_S0_S0_S0_Pfffi, .Lfunc_end1-_Z4mdh2PKfS0_S0_S0_S0_S0_S0_S0_Pfffi
                                        ; -- End function
	.set _Z4mdh2PKfS0_S0_S0_S0_S0_S0_S0_Pfffi.num_vgpr, 35
	.set _Z4mdh2PKfS0_S0_S0_S0_S0_S0_S0_Pfffi.num_agpr, 0
	.set _Z4mdh2PKfS0_S0_S0_S0_S0_S0_S0_Pfffi.numbered_sgpr, 37
	.set _Z4mdh2PKfS0_S0_S0_S0_S0_S0_S0_Pfffi.num_named_barrier, 0
	.set _Z4mdh2PKfS0_S0_S0_S0_S0_S0_S0_Pfffi.private_seg_size, 0
	.set _Z4mdh2PKfS0_S0_S0_S0_S0_S0_S0_Pfffi.uses_vcc, 1
	.set _Z4mdh2PKfS0_S0_S0_S0_S0_S0_S0_Pfffi.uses_flat_scratch, 0
	.set _Z4mdh2PKfS0_S0_S0_S0_S0_S0_S0_Pfffi.has_dyn_sized_stack, 0
	.set _Z4mdh2PKfS0_S0_S0_S0_S0_S0_S0_Pfffi.has_recursion, 0
	.set _Z4mdh2PKfS0_S0_S0_S0_S0_S0_S0_Pfffi.has_indirect_call, 0
	.section	.AMDGPU.csdata,"",@progbits
; Kernel info:
; codeLenInByte = 2140
; TotalNumSgprs: 41
; NumVgprs: 35
; ScratchSize: 0
; MemoryBound: 0
; FloatMode: 240
; IeeeMode: 1
; LDSByteSize: 0 bytes/workgroup (compile time only)
; SGPRBlocks: 5
; VGPRBlocks: 8
; NumSGPRsForWavesPerEU: 41
; NumVGPRsForWavesPerEU: 35
; Occupancy: 7
; WaveLimiterHint : 0
; COMPUTE_PGM_RSRC2:SCRATCH_EN: 0
; COMPUTE_PGM_RSRC2:USER_SGPR: 6
; COMPUTE_PGM_RSRC2:TRAP_HANDLER: 0
; COMPUTE_PGM_RSRC2:TGID_X_EN: 1
; COMPUTE_PGM_RSRC2:TGID_Y_EN: 0
; COMPUTE_PGM_RSRC2:TGID_Z_EN: 0
; COMPUTE_PGM_RSRC2:TIDIG_COMP_CNT: 0
	.text
	.protected	_Z4mdh3PKfS0_S0_S0_S0_S0_S0_S0_Pfffi ; -- Begin function _Z4mdh3PKfS0_S0_S0_S0_S0_S0_S0_Pfffi
	.globl	_Z4mdh3PKfS0_S0_S0_S0_S0_S0_S0_Pfffi
	.p2align	8
	.type	_Z4mdh3PKfS0_S0_S0_S0_S0_S0_S0_Pfffi,@function
_Z4mdh3PKfS0_S0_S0_S0_S0_S0_S0_Pfffi:   ; @_Z4mdh3PKfS0_S0_S0_S0_S0_S0_S0_Pfffi
; %bb.0:
	s_load_dword s7, s[4:5], 0x64
	s_load_dwordx2 s[24:25], s[4:5], 0x40
	s_load_dwordx4 s[0:3], s[4:5], 0x48
	s_waitcnt lgkmcnt(0)
	s_and_b32 s3, s7, 0xffff
	s_mul_i32 s6, s6, s3
	v_add_u32_e32 v1, s6, v0
	v_ashrrev_i32_e32 v2, 31, v1
	v_lshlrev_b64 v[17:18], 4, v[1:2]
	s_cmp_lt_i32 s2, 1
	s_cbranch_scc1 .LBB2_8
; %bb.1:
	s_load_dwordx8 s[8:15], s[4:5], 0x0
	s_load_dwordx8 s[16:23], s[4:5], 0x20
	s_mov_b32 s6, s0
	s_mov_b32 s7, s0
	;; [unrolled: 1-line block ×3, first 2 shown]
	s_waitcnt lgkmcnt(0)
	v_mov_b32_e32 v2, s15
	v_add_co_u32_e32 v1, vcc, s14, v17
	v_addc_co_u32_e32 v2, vcc, v2, v18, vcc
	v_mov_b32_e32 v6, s17
	v_add_co_u32_e32 v5, vcc, s16, v17
	v_addc_co_u32_e32 v6, vcc, v6, v18, vcc
	global_load_dwordx4 v[9:12], v[5:6], off
	v_mov_b32_e32 v6, s19
	v_add_co_u32_e32 v5, vcc, s18, v17
	v_addc_co_u32_e32 v6, vcc, v6, v18, vcc
	global_load_dwordx4 v[1:4], v[1:2], off
	s_xor_b32 s15, s1, 0x80000000
	global_load_dwordx4 v[13:16], v[5:6], off
	v_mov_b32_e32 v5, 0
	s_mov_b32 s14, s0
	s_mov_b32 s16, s15
	;; [unrolled: 1-line block ×5, first 2 shown]
	v_mov_b32_e32 v6, v5
	v_mov_b32_e32 v7, v5
	v_mov_b32_e32 v8, v5
	v_lshl_add_u32 v19, v0, 2, 0
	s_branch .LBB2_3
.LBB2_2:                                ;   in Loop: Header=BB2_3 Depth=1
	s_add_i32 s19, s3, s19
	s_cmp_ge_i32 s19, s2
	s_barrier
	s_cbranch_scc1 .LBB2_9
.LBB2_3:                                ; =>This Loop Header: Depth=1
                                        ;     Child Loop BB2_7 Depth 2
	s_add_i32 s28, s3, s19
	s_sub_i32 s4, s2, s19
	s_cmp_gt_i32 s28, s2
	v_add_u32_e32 v20, s19, v0
	s_cselect_b32 s3, s4, s3
	v_cmp_gt_i32_e32 vcc, s2, v20
	s_and_saveexec_b64 s[4:5], vcc
	s_cbranch_execz .LBB2_5
; %bb.4:                                ;   in Loop: Header=BB2_3 Depth=1
	v_ashrrev_i32_e32 v21, 31, v20
	v_lshlrev_b64 v[20:21], 2, v[20:21]
	v_mov_b32_e32 v23, s9
	v_add_co_u32_e32 v22, vcc, s8, v20
	v_addc_co_u32_e32 v23, vcc, v23, v21, vcc
	global_load_dword v22, v[22:23], off
	v_mov_b32_e32 v23, s11
	s_waitcnt vmcnt(0)
	ds_write_b32 v19, v22
	v_add_co_u32_e32 v22, vcc, s10, v20
	v_addc_co_u32_e32 v23, vcc, v23, v21, vcc
	global_load_dword v22, v[22:23], off
	v_lshl_add_u32 v23, s3, 2, v19
	s_waitcnt vmcnt(0)
	ds_write_b32 v23, v22
	v_add_co_u32_e32 v22, vcc, s12, v20
	v_mov_b32_e32 v23, s13
	v_addc_co_u32_e32 v23, vcc, v23, v21, vcc
	global_load_dword v22, v[22:23], off
	v_lshl_add_u32 v23, s3, 3, v19
	s_waitcnt vmcnt(0)
	ds_write_b32 v23, v22
	v_add_co_u32_e32 v22, vcc, s20, v20
	v_mov_b32_e32 v23, s21
	v_addc_co_u32_e32 v23, vcc, v23, v21, vcc
	global_load_dword v24, v[22:23], off
	v_mad_u64_u32 v[22:23], s[30:31], s3, 12, v[19:20]
	v_add_co_u32_e32 v20, vcc, s22, v20
	s_waitcnt vmcnt(0)
	ds_write_b32 v22, v24
	v_mov_b32_e32 v22, s23
	v_addc_co_u32_e32 v21, vcc, v22, v21, vcc
	global_load_dword v20, v[20:21], off
	v_lshl_add_u32 v21, s3, 4, v19
	s_waitcnt vmcnt(0)
	ds_write_b32 v21, v20
.LBB2_5:                                ;   in Loop: Header=BB2_3 Depth=1
	s_or_b64 exec, exec, s[4:5]
	s_cmp_lt_i32 s3, 1
	s_waitcnt vmcnt(0) lgkmcnt(0)
	s_barrier
	s_cbranch_scc1 .LBB2_2
; %bb.6:                                ;   in Loop: Header=BB2_3 Depth=1
	s_min_i32 s28, s2, s28
	s_lshl_b32 s28, s28, 2
	s_lshl_b32 s29, s19, 2
	s_lshl_b32 s4, s3, 3
	s_mul_i32 s5, s3, 12
	s_lshl_b32 s27, s3, 4
	s_sub_i32 s28, s28, s29
	s_mov_b32 s29, 0
	s_mov_b32 s30, 0
.LBB2_7:                                ;   Parent Loop BB2_3 Depth=1
                                        ; =>  This Inner Loop Header: Depth=2
	v_mov_b32_e32 v20, s30
	s_add_i32 s31, s30, s28
	s_add_i32 s33, s30, s4
	v_mov_b32_e32 v21, s31
	v_mov_b32_e32 v22, s33
	ds_read_b32 v27, v20
	ds_read_b32 v28, v21
	;; [unrolled: 1-line block ×3, first 2 shown]
	s_add_i32 s34, s30, s5
	s_add_i32 s31, s30, s27
	s_waitcnt lgkmcnt(2)
	v_sub_f32_e32 v20, v4, v27
	s_waitcnt lgkmcnt(1)
	v_sub_f32_e32 v21, v12, v28
	v_mul_f32_e32 v21, v21, v21
	v_fmac_f32_e32 v21, v20, v20
	s_waitcnt lgkmcnt(0)
	v_sub_f32_e32 v20, v16, v29
	v_fmac_f32_e32 v21, v20, v20
	v_cmp_gt_f32_e32 vcc, s26, v21
	v_cndmask_b32_e64 v20, 0, 32, vcc
	v_ldexp_f32 v20, v21, v20
	v_sqrt_f32_e32 v20, v20
	v_cndmask_b32_e64 v21, 0, -16, vcc
	s_add_i32 s29, s29, 1
	s_add_i32 s30, s30, 4
	v_ldexp_f32 v20, v20, v21
	v_mov_b32_e32 v21, s34
	ds_read_b32 v21, v21
	s_cmp_ge_i32 s29, s3
	s_waitcnt lgkmcnt(0)
	v_div_scale_f32 v22, s[34:35], v20, v20, v21
	v_rcp_f32_e32 v23, v22
	v_fma_f32 v24, -v22, v23, 1.0
	v_fmac_f32_e32 v23, v24, v23
	v_div_scale_f32 v24, vcc, v21, v20, v21
	v_mul_f32_e32 v25, v24, v23
	v_fma_f32 v26, -v22, v25, v24
	v_fmac_f32_e32 v25, v26, v23
	v_fma_f32 v22, -v22, v25, v24
	v_div_fmas_f32 v22, v22, v23, v25
	v_sub_f32_e32 v23, v11, v28
	v_mul_f32_e32 v23, v23, v23
	v_sub_f32_e32 v24, v3, v27
	v_fmac_f32_e32 v23, v24, v24
	v_sub_f32_e32 v24, v15, v29
	v_fmac_f32_e32 v23, v24, v24
	v_cmp_gt_f32_e32 vcc, s26, v23
	v_cndmask_b32_e64 v24, 0, 32, vcc
	v_ldexp_f32 v23, v23, v24
	v_sqrt_f32_e32 v23, v23
	v_cndmask_b32_e64 v24, 0, -16, vcc
	v_ldexp_f32 v23, v23, v24
	v_div_scale_f32 v24, s[34:35], v23, v23, v21
	v_rcp_f32_e32 v25, v24
	v_fma_f32 v26, -v24, v25, 1.0
	v_fmac_f32_e32 v25, v26, v25
	v_div_scale_f32 v26, vcc, v21, v23, v21
	v_mul_f32_e32 v30, v26, v25
	v_fma_f32 v31, -v24, v30, v26
	v_fmac_f32_e32 v30, v31, v25
	v_fma_f32 v24, -v24, v30, v26
	v_div_fmas_f32 v24, v24, v25, v30
	v_sub_f32_e32 v25, v10, v28
	v_mul_f32_e32 v25, v25, v25
	v_sub_f32_e32 v26, v2, v27
	v_fmac_f32_e32 v25, v26, v26
	v_sub_f32_e32 v26, v14, v29
	v_fmac_f32_e32 v25, v26, v26
	v_cmp_gt_f32_e32 vcc, s26, v25
	v_cndmask_b32_e64 v26, 0, 32, vcc
	v_ldexp_f32 v25, v25, v26
	v_sqrt_f32_e32 v25, v25
	v_cndmask_b32_e64 v26, 0, -16, vcc
	v_sub_f32_e32 v28, v9, v28
	v_sub_f32_e32 v27, v1, v27
	v_ldexp_f32 v25, v25, v26
	v_div_scale_f32 v26, s[34:35], v25, v25, v21
	v_mul_f32_e32 v28, v28, v28
	v_fmac_f32_e32 v28, v27, v27
	v_sub_f32_e32 v27, v13, v29
	v_fmac_f32_e32 v28, v27, v27
	v_div_fixup_f32 v24, v24, v23, v21
	v_mul_f32_e32 v24, s14, v24
	v_rcp_f32_e32 v30, v26
	v_fma_f32 v31, -v26, v30, 1.0
	v_fmac_f32_e32 v30, v31, v30
	v_div_scale_f32 v31, vcc, v21, v25, v21
	v_mul_f32_e32 v32, v31, v30
	v_fma_f32 v33, -v26, v32, v31
	v_fmac_f32_e32 v32, v33, v30
	v_fma_f32 v26, -v26, v32, v31
	v_div_fmas_f32 v26, v26, v30, v32
	v_cmp_gt_f32_e32 vcc, s26, v28
	v_cndmask_b32_e64 v27, 0, 32, vcc
	v_ldexp_f32 v27, v28, v27
	v_sqrt_f32_e32 v27, v27
	v_cndmask_b32_e64 v28, 0, -16, vcc
	v_ldexp_f32 v27, v27, v28
	v_div_scale_f32 v28, s[34:35], v27, v27, v21
	v_div_fixup_f32 v26, v26, v25, v21
	v_mul_f32_e32 v26, s7, v26
	v_rcp_f32_e32 v29, v28
	v_fma_f32 v30, -v28, v29, 1.0
	v_fmac_f32_e32 v29, v30, v29
	v_div_scale_f32 v30, vcc, v21, v27, v21
	v_mul_f32_e32 v31, v30, v29
	v_fma_f32 v32, -v28, v31, v30
	v_fmac_f32_e32 v31, v32, v29
	v_fma_f32 v28, -v28, v31, v30
	v_div_fmas_f32 v28, v28, v29, v31
	v_mov_b32_e32 v29, s31
	ds_read_b32 v29, v29
	s_waitcnt lgkmcnt(0)
	v_sub_f32_e32 v25, v25, v29
	v_mul_f32_e32 v25, s16, v25
	v_mul_f32_e32 v25, 0x3fb8aa3b, v25
	v_exp_f32_e32 v25, v25
	v_sub_f32_e32 v23, v23, v29
	v_mul_f32_e32 v23, s17, v23
	v_mul_f32_e32 v23, 0x3fb8aa3b, v23
	;; [unrolled: 1-line block ×3, first 2 shown]
	v_exp_f32_e32 v23, v23
	v_div_fixup_f32 v28, v28, v27, v21
	v_sub_f32_e32 v27, v27, v29
	v_mul_f32_e32 v27, s15, v27
	v_mul_f32_e32 v27, 0x3fb8aa3b, v27
	v_exp_f32_e32 v27, v27
	v_mul_f32_e32 v28, s6, v28
	v_mul_f32_e32 v23, v24, v23
	v_div_fixup_f32 v21, v22, v20, v21
	v_mul_f32_e32 v27, v28, v27
	v_fma_f32 v28, s1, v29, 1.0
	v_div_scale_f32 v30, s[34:35], v28, v28, v27
	v_div_scale_f32 v26, s[34:35], v28, v28, v25
	v_div_scale_f32 v24, s[34:35], v28, v28, v23
	v_sub_f32_e32 v20, v20, v29
	v_mul_f32_e32 v20, s18, v20
	v_mul_f32_e32 v20, 0x3fb8aa3b, v20
	v_exp_f32_e32 v20, v20
	v_mul_f32_e32 v21, s0, v21
	v_mul_f32_e32 v20, v21, v20
	v_div_scale_f32 v21, s[34:35], v28, v28, v20
	v_rcp_f32_e32 v31, v30
	v_fma_f32 v32, -v30, v31, 1.0
	v_fmac_f32_e32 v31, v32, v31
	v_div_scale_f32 v32, vcc, v27, v28, v27
	v_rcp_f32_e32 v22, v21
	v_fma_f32 v29, -v21, v22, 1.0
	v_fmac_f32_e32 v22, v29, v22
	v_mul_f32_e32 v33, v32, v31
	v_fma_f32 v34, -v30, v33, v32
	v_fmac_f32_e32 v33, v34, v31
	v_fma_f32 v30, -v30, v33, v32
	v_div_fmas_f32 v30, v30, v31, v33
	v_rcp_f32_e32 v31, v26
	v_fma_f32 v32, -v26, v31, 1.0
	v_fmac_f32_e32 v31, v32, v31
	v_div_scale_f32 v32, vcc, v25, v28, v25
	v_mul_f32_e32 v33, v32, v31
	v_fma_f32 v34, -v26, v33, v32
	v_fmac_f32_e32 v33, v34, v31
	v_fma_f32 v26, -v26, v33, v32
	v_div_fmas_f32 v26, v26, v31, v33
	v_rcp_f32_e32 v31, v24
	v_fma_f32 v32, -v24, v31, 1.0
	v_fmac_f32_e32 v31, v32, v31
	v_div_scale_f32 v32, vcc, v23, v28, v23
	v_div_fixup_f32 v25, v26, v28, v25
	v_add_f32_e32 v6, v6, v25
	v_mul_f32_e32 v33, v32, v31
	v_fma_f32 v34, -v24, v33, v32
	v_fmac_f32_e32 v33, v34, v31
	v_fma_f32 v24, -v24, v33, v32
	v_div_fmas_f32 v24, v24, v31, v33
	v_div_scale_f32 v29, vcc, v20, v28, v20
	v_mul_f32_e32 v31, v29, v22
	v_fma_f32 v32, -v21, v31, v29
	v_fmac_f32_e32 v31, v32, v22
	v_fma_f32 v21, -v21, v31, v29
	v_div_fmas_f32 v21, v21, v22, v31
	v_div_fixup_f32 v22, v30, v28, v27
	v_add_f32_e32 v5, v5, v22
	v_div_fixup_f32 v22, v24, v28, v23
	v_add_f32_e32 v7, v7, v22
	;; [unrolled: 2-line block ×3, first 2 shown]
	s_cbranch_scc0 .LBB2_7
	s_branch .LBB2_2
.LBB2_8:
	v_mov_b32_e32 v5, 0
	v_mov_b32_e32 v6, v5
	;; [unrolled: 1-line block ×4, first 2 shown]
.LBB2_9:
	v_mov_b32_e32 v1, s25
	v_add_co_u32_e32 v0, vcc, s24, v17
	v_addc_co_u32_e32 v1, vcc, v1, v18, vcc
	global_store_dwordx4 v[0:1], v[5:8], off
	s_endpgm
	.section	.rodata,"a",@progbits
	.p2align	6, 0x0
	.amdhsa_kernel _Z4mdh3PKfS0_S0_S0_S0_S0_S0_S0_Pfffi
		.amdhsa_group_segment_fixed_size 0
		.amdhsa_private_segment_fixed_size 0
		.amdhsa_kernarg_size 344
		.amdhsa_user_sgpr_count 6
		.amdhsa_user_sgpr_private_segment_buffer 1
		.amdhsa_user_sgpr_dispatch_ptr 0
		.amdhsa_user_sgpr_queue_ptr 0
		.amdhsa_user_sgpr_kernarg_segment_ptr 1
		.amdhsa_user_sgpr_dispatch_id 0
		.amdhsa_user_sgpr_flat_scratch_init 0
		.amdhsa_user_sgpr_private_segment_size 0
		.amdhsa_uses_dynamic_stack 0
		.amdhsa_system_sgpr_private_segment_wavefront_offset 0
		.amdhsa_system_sgpr_workgroup_id_x 1
		.amdhsa_system_sgpr_workgroup_id_y 0
		.amdhsa_system_sgpr_workgroup_id_z 0
		.amdhsa_system_sgpr_workgroup_info 0
		.amdhsa_system_vgpr_workitem_id 0
		.amdhsa_next_free_vgpr 35
		.amdhsa_next_free_sgpr 36
		.amdhsa_reserve_vcc 1
		.amdhsa_reserve_flat_scratch 0
		.amdhsa_float_round_mode_32 0
		.amdhsa_float_round_mode_16_64 0
		.amdhsa_float_denorm_mode_32 3
		.amdhsa_float_denorm_mode_16_64 3
		.amdhsa_dx10_clamp 1
		.amdhsa_ieee_mode 1
		.amdhsa_fp16_overflow 0
		.amdhsa_exception_fp_ieee_invalid_op 0
		.amdhsa_exception_fp_denorm_src 0
		.amdhsa_exception_fp_ieee_div_zero 0
		.amdhsa_exception_fp_ieee_overflow 0
		.amdhsa_exception_fp_ieee_underflow 0
		.amdhsa_exception_fp_ieee_inexact 0
		.amdhsa_exception_int_div_zero 0
	.end_amdhsa_kernel
	.text
.Lfunc_end2:
	.size	_Z4mdh3PKfS0_S0_S0_S0_S0_S0_S0_Pfffi, .Lfunc_end2-_Z4mdh3PKfS0_S0_S0_S0_S0_S0_S0_Pfffi
                                        ; -- End function
	.set _Z4mdh3PKfS0_S0_S0_S0_S0_S0_S0_Pfffi.num_vgpr, 35
	.set _Z4mdh3PKfS0_S0_S0_S0_S0_S0_S0_Pfffi.num_agpr, 0
	.set _Z4mdh3PKfS0_S0_S0_S0_S0_S0_S0_Pfffi.numbered_sgpr, 36
	.set _Z4mdh3PKfS0_S0_S0_S0_S0_S0_S0_Pfffi.num_named_barrier, 0
	.set _Z4mdh3PKfS0_S0_S0_S0_S0_S0_S0_Pfffi.private_seg_size, 0
	.set _Z4mdh3PKfS0_S0_S0_S0_S0_S0_S0_Pfffi.uses_vcc, 1
	.set _Z4mdh3PKfS0_S0_S0_S0_S0_S0_S0_Pfffi.uses_flat_scratch, 0
	.set _Z4mdh3PKfS0_S0_S0_S0_S0_S0_S0_Pfffi.has_dyn_sized_stack, 0
	.set _Z4mdh3PKfS0_S0_S0_S0_S0_S0_S0_Pfffi.has_recursion, 0
	.set _Z4mdh3PKfS0_S0_S0_S0_S0_S0_S0_Pfffi.has_indirect_call, 0
	.section	.AMDGPU.csdata,"",@progbits
; Kernel info:
; codeLenInByte = 1648
; TotalNumSgprs: 40
; NumVgprs: 35
; ScratchSize: 0
; MemoryBound: 0
; FloatMode: 240
; IeeeMode: 1
; LDSByteSize: 0 bytes/workgroup (compile time only)
; SGPRBlocks: 4
; VGPRBlocks: 8
; NumSGPRsForWavesPerEU: 40
; NumVGPRsForWavesPerEU: 35
; Occupancy: 7
; WaveLimiterHint : 0
; COMPUTE_PGM_RSRC2:SCRATCH_EN: 0
; COMPUTE_PGM_RSRC2:USER_SGPR: 6
; COMPUTE_PGM_RSRC2:TRAP_HANDLER: 0
; COMPUTE_PGM_RSRC2:TGID_X_EN: 1
; COMPUTE_PGM_RSRC2:TGID_Y_EN: 0
; COMPUTE_PGM_RSRC2:TGID_Z_EN: 0
; COMPUTE_PGM_RSRC2:TIDIG_COMP_CNT: 0
	.section	.AMDGPU.gpr_maximums,"",@progbits
	.set amdgpu.max_num_vgpr, 0
	.set amdgpu.max_num_agpr, 0
	.set amdgpu.max_num_sgpr, 0
	.section	.AMDGPU.csdata,"",@progbits
	.type	__hip_cuid_90aaa4d65d8b0d50,@object ; @__hip_cuid_90aaa4d65d8b0d50
	.section	.bss,"aw",@nobits
	.globl	__hip_cuid_90aaa4d65d8b0d50
__hip_cuid_90aaa4d65d8b0d50:
	.byte	0                               ; 0x0
	.size	__hip_cuid_90aaa4d65d8b0d50, 1

	.ident	"AMD clang version 22.0.0git (https://github.com/RadeonOpenCompute/llvm-project roc-7.2.4 26084 f58b06dce1f9c15707c5f808fd002e18c2accf7e)"
	.section	".note.GNU-stack","",@progbits
	.addrsig
	.addrsig_sym __hip_cuid_90aaa4d65d8b0d50
	.amdgpu_metadata
---
amdhsa.kernels:
  - .args:
      - .actual_access:  read_only
        .address_space:  global
        .offset:         0
        .size:           8
        .value_kind:     global_buffer
      - .actual_access:  read_only
        .address_space:  global
        .offset:         8
        .size:           8
        .value_kind:     global_buffer
      - .actual_access:  read_only
        .address_space:  global
        .offset:         16
        .size:           8
        .value_kind:     global_buffer
      - .actual_access:  read_only
        .address_space:  global
        .offset:         24
        .size:           8
        .value_kind:     global_buffer
      - .actual_access:  read_only
        .address_space:  global
        .offset:         32
        .size:           8
        .value_kind:     global_buffer
      - .actual_access:  read_only
        .address_space:  global
        .offset:         40
        .size:           8
        .value_kind:     global_buffer
      - .actual_access:  read_only
        .address_space:  global
        .offset:         48
        .size:           8
        .value_kind:     global_buffer
      - .actual_access:  read_only
        .address_space:  global
        .offset:         56
        .size:           8
        .value_kind:     global_buffer
      - .actual_access:  write_only
        .address_space:  global
        .offset:         64
        .size:           8
        .value_kind:     global_buffer
      - .offset:         72
        .size:           4
        .value_kind:     by_value
      - .offset:         76
        .size:           4
        .value_kind:     by_value
      - .offset:         80
        .size:           4
        .value_kind:     by_value
      - .offset:         88
        .size:           4
        .value_kind:     hidden_block_count_x
      - .offset:         92
        .size:           4
        .value_kind:     hidden_block_count_y
      - .offset:         96
        .size:           4
        .value_kind:     hidden_block_count_z
      - .offset:         100
        .size:           2
        .value_kind:     hidden_group_size_x
      - .offset:         102
        .size:           2
        .value_kind:     hidden_group_size_y
      - .offset:         104
        .size:           2
        .value_kind:     hidden_group_size_z
      - .offset:         106
        .size:           2
        .value_kind:     hidden_remainder_x
      - .offset:         108
        .size:           2
        .value_kind:     hidden_remainder_y
      - .offset:         110
        .size:           2
        .value_kind:     hidden_remainder_z
      - .offset:         128
        .size:           8
        .value_kind:     hidden_global_offset_x
      - .offset:         136
        .size:           8
        .value_kind:     hidden_global_offset_y
      - .offset:         144
        .size:           8
        .value_kind:     hidden_global_offset_z
      - .offset:         152
        .size:           2
        .value_kind:     hidden_grid_dims
      - .offset:         208
        .size:           4
        .value_kind:     hidden_dynamic_lds_size
    .group_segment_fixed_size: 0
    .kernarg_segment_align: 8
    .kernarg_segment_size: 344
    .language:       OpenCL C
    .language_version:
      - 2
      - 0
    .max_flat_workgroup_size: 1024
    .name:           _Z3mdhPKfS0_S0_S0_S0_S0_S0_S0_Pfffi
    .private_segment_fixed_size: 0
    .sgpr_count:     39
    .sgpr_spill_count: 0
    .symbol:         _Z3mdhPKfS0_S0_S0_S0_S0_S0_S0_Pfffi.kd
    .uniform_work_group_size: 1
    .uses_dynamic_stack: false
    .vgpr_count:     37
    .vgpr_spill_count: 0
    .wavefront_size: 64
  - .args:
      - .actual_access:  read_only
        .address_space:  global
        .offset:         0
        .size:           8
        .value_kind:     global_buffer
      - .actual_access:  read_only
        .address_space:  global
        .offset:         8
        .size:           8
        .value_kind:     global_buffer
      - .actual_access:  read_only
        .address_space:  global
        .offset:         16
        .size:           8
        .value_kind:     global_buffer
      - .actual_access:  read_only
        .address_space:  global
        .offset:         24
        .size:           8
        .value_kind:     global_buffer
      - .actual_access:  read_only
        .address_space:  global
        .offset:         32
        .size:           8
        .value_kind:     global_buffer
      - .actual_access:  read_only
        .address_space:  global
        .offset:         40
        .size:           8
        .value_kind:     global_buffer
      - .actual_access:  read_only
        .address_space:  global
        .offset:         48
        .size:           8
        .value_kind:     global_buffer
      - .actual_access:  read_only
        .address_space:  global
        .offset:         56
        .size:           8
        .value_kind:     global_buffer
      - .actual_access:  write_only
        .address_space:  global
        .offset:         64
        .size:           8
        .value_kind:     global_buffer
      - .offset:         72
        .size:           4
        .value_kind:     by_value
      - .offset:         76
        .size:           4
        .value_kind:     by_value
      - .offset:         80
        .size:           4
        .value_kind:     by_value
      - .offset:         88
        .size:           4
        .value_kind:     hidden_block_count_x
      - .offset:         92
        .size:           4
        .value_kind:     hidden_block_count_y
      - .offset:         96
        .size:           4
        .value_kind:     hidden_block_count_z
      - .offset:         100
        .size:           2
        .value_kind:     hidden_group_size_x
      - .offset:         102
        .size:           2
        .value_kind:     hidden_group_size_y
      - .offset:         104
        .size:           2
        .value_kind:     hidden_group_size_z
      - .offset:         106
        .size:           2
        .value_kind:     hidden_remainder_x
      - .offset:         108
        .size:           2
        .value_kind:     hidden_remainder_y
      - .offset:         110
        .size:           2
        .value_kind:     hidden_remainder_z
      - .offset:         128
        .size:           8
        .value_kind:     hidden_global_offset_x
      - .offset:         136
        .size:           8
        .value_kind:     hidden_global_offset_y
      - .offset:         144
        .size:           8
        .value_kind:     hidden_global_offset_z
      - .offset:         152
        .size:           2
        .value_kind:     hidden_grid_dims
      - .offset:         208
        .size:           4
        .value_kind:     hidden_dynamic_lds_size
    .group_segment_fixed_size: 0
    .kernarg_segment_align: 8
    .kernarg_segment_size: 344
    .language:       OpenCL C
    .language_version:
      - 2
      - 0
    .max_flat_workgroup_size: 1024
    .name:           _Z4mdh2PKfS0_S0_S0_S0_S0_S0_S0_Pfffi
    .private_segment_fixed_size: 0
    .sgpr_count:     41
    .sgpr_spill_count: 0
    .symbol:         _Z4mdh2PKfS0_S0_S0_S0_S0_S0_S0_Pfffi.kd
    .uniform_work_group_size: 1
    .uses_dynamic_stack: false
    .vgpr_count:     35
    .vgpr_spill_count: 0
    .wavefront_size: 64
  - .args:
      - .actual_access:  read_only
        .address_space:  global
        .offset:         0
        .size:           8
        .value_kind:     global_buffer
      - .actual_access:  read_only
        .address_space:  global
        .offset:         8
        .size:           8
        .value_kind:     global_buffer
      - .actual_access:  read_only
        .address_space:  global
        .offset:         16
        .size:           8
        .value_kind:     global_buffer
      - .actual_access:  read_only
        .address_space:  global
        .offset:         24
        .size:           8
        .value_kind:     global_buffer
      - .actual_access:  read_only
        .address_space:  global
        .offset:         32
        .size:           8
        .value_kind:     global_buffer
      - .actual_access:  read_only
        .address_space:  global
        .offset:         40
        .size:           8
        .value_kind:     global_buffer
      - .actual_access:  read_only
        .address_space:  global
        .offset:         48
        .size:           8
        .value_kind:     global_buffer
      - .actual_access:  read_only
        .address_space:  global
        .offset:         56
        .size:           8
        .value_kind:     global_buffer
      - .actual_access:  write_only
        .address_space:  global
        .offset:         64
        .size:           8
        .value_kind:     global_buffer
      - .offset:         72
        .size:           4
        .value_kind:     by_value
      - .offset:         76
        .size:           4
        .value_kind:     by_value
      - .offset:         80
        .size:           4
        .value_kind:     by_value
      - .offset:         88
        .size:           4
        .value_kind:     hidden_block_count_x
      - .offset:         92
        .size:           4
        .value_kind:     hidden_block_count_y
      - .offset:         96
        .size:           4
        .value_kind:     hidden_block_count_z
      - .offset:         100
        .size:           2
        .value_kind:     hidden_group_size_x
      - .offset:         102
        .size:           2
        .value_kind:     hidden_group_size_y
      - .offset:         104
        .size:           2
        .value_kind:     hidden_group_size_z
      - .offset:         106
        .size:           2
        .value_kind:     hidden_remainder_x
      - .offset:         108
        .size:           2
        .value_kind:     hidden_remainder_y
      - .offset:         110
        .size:           2
        .value_kind:     hidden_remainder_z
      - .offset:         128
        .size:           8
        .value_kind:     hidden_global_offset_x
      - .offset:         136
        .size:           8
        .value_kind:     hidden_global_offset_y
      - .offset:         144
        .size:           8
        .value_kind:     hidden_global_offset_z
      - .offset:         152
        .size:           2
        .value_kind:     hidden_grid_dims
      - .offset:         208
        .size:           4
        .value_kind:     hidden_dynamic_lds_size
    .group_segment_fixed_size: 0
    .kernarg_segment_align: 8
    .kernarg_segment_size: 344
    .language:       OpenCL C
    .language_version:
      - 2
      - 0
    .max_flat_workgroup_size: 1024
    .name:           _Z4mdh3PKfS0_S0_S0_S0_S0_S0_S0_Pfffi
    .private_segment_fixed_size: 0
    .sgpr_count:     40
    .sgpr_spill_count: 0
    .symbol:         _Z4mdh3PKfS0_S0_S0_S0_S0_S0_S0_Pfffi.kd
    .uniform_work_group_size: 1
    .uses_dynamic_stack: false
    .vgpr_count:     35
    .vgpr_spill_count: 0
    .wavefront_size: 64
amdhsa.target:   amdgcn-amd-amdhsa--gfx906
amdhsa.version:
  - 1
  - 2
...

	.end_amdgpu_metadata
